;; amdgpu-corpus repo=ROCm/rocFFT kind=compiled arch=gfx1100 opt=O3
	.text
	.amdgcn_target "amdgcn-amd-amdhsa--gfx1100"
	.amdhsa_code_object_version 6
	.protected	fft_rtc_back_len1296_factors_6_6_6_6_wgs_108_tpt_108_halfLds_dp_ip_CI_unitstride_sbrr_C2R_dirReg ; -- Begin function fft_rtc_back_len1296_factors_6_6_6_6_wgs_108_tpt_108_halfLds_dp_ip_CI_unitstride_sbrr_C2R_dirReg
	.globl	fft_rtc_back_len1296_factors_6_6_6_6_wgs_108_tpt_108_halfLds_dp_ip_CI_unitstride_sbrr_C2R_dirReg
	.p2align	8
	.type	fft_rtc_back_len1296_factors_6_6_6_6_wgs_108_tpt_108_halfLds_dp_ip_CI_unitstride_sbrr_C2R_dirReg,@function
fft_rtc_back_len1296_factors_6_6_6_6_wgs_108_tpt_108_halfLds_dp_ip_CI_unitstride_sbrr_C2R_dirReg: ; @fft_rtc_back_len1296_factors_6_6_6_6_wgs_108_tpt_108_halfLds_dp_ip_CI_unitstride_sbrr_C2R_dirReg
; %bb.0:
	s_clause 0x2
	s_load_b128 s[4:7], s[0:1], 0x0
	s_load_b64 s[8:9], s[0:1], 0x50
	s_load_b64 s[10:11], s[0:1], 0x18
	v_mul_u32_u24_e32 v1, 0x25f, v0
	v_mov_b32_e32 v3, 0
	v_mov_b32_e32 v4, 0
	s_delay_alu instid0(VALU_DEP_3) | instskip(SKIP_1) | instid1(VALU_DEP_1)
	v_lshrrev_b32_e32 v2, 16, v1
	v_mov_b32_e32 v1, 0
	v_dual_mov_b32 v6, v1 :: v_dual_add_nc_u32 v5, s15, v2
	s_waitcnt lgkmcnt(0)
	v_cmp_lt_u64_e64 s2, s[6:7], 2
	s_delay_alu instid0(VALU_DEP_1)
	s_and_b32 vcc_lo, exec_lo, s2
	s_cbranch_vccnz .LBB0_8
; %bb.1:
	s_load_b64 s[2:3], s[0:1], 0x10
	v_mov_b32_e32 v3, 0
	s_add_u32 s12, s10, 8
	v_mov_b32_e32 v4, 0
	s_addc_u32 s13, s11, 0
	s_mov_b64 s[16:17], 1
	s_waitcnt lgkmcnt(0)
	s_add_u32 s14, s2, 8
	s_addc_u32 s15, s3, 0
.LBB0_2:                                ; =>This Inner Loop Header: Depth=1
	s_load_b64 s[18:19], s[14:15], 0x0
                                        ; implicit-def: $vgpr7_vgpr8
	s_mov_b32 s2, exec_lo
	s_waitcnt lgkmcnt(0)
	v_or_b32_e32 v2, s19, v6
	s_delay_alu instid0(VALU_DEP_1)
	v_cmpx_ne_u64_e32 0, v[1:2]
	s_xor_b32 s3, exec_lo, s2
	s_cbranch_execz .LBB0_4
; %bb.3:                                ;   in Loop: Header=BB0_2 Depth=1
	v_cvt_f32_u32_e32 v2, s18
	v_cvt_f32_u32_e32 v7, s19
	s_sub_u32 s2, 0, s18
	s_subb_u32 s20, 0, s19
	s_delay_alu instid0(VALU_DEP_1) | instskip(NEXT) | instid1(VALU_DEP_1)
	v_fmac_f32_e32 v2, 0x4f800000, v7
	v_rcp_f32_e32 v2, v2
	s_waitcnt_depctr 0xfff
	v_mul_f32_e32 v2, 0x5f7ffffc, v2
	s_delay_alu instid0(VALU_DEP_1) | instskip(NEXT) | instid1(VALU_DEP_1)
	v_mul_f32_e32 v7, 0x2f800000, v2
	v_trunc_f32_e32 v7, v7
	s_delay_alu instid0(VALU_DEP_1) | instskip(SKIP_1) | instid1(VALU_DEP_2)
	v_fmac_f32_e32 v2, 0xcf800000, v7
	v_cvt_u32_f32_e32 v7, v7
	v_cvt_u32_f32_e32 v2, v2
	s_delay_alu instid0(VALU_DEP_2) | instskip(NEXT) | instid1(VALU_DEP_2)
	v_mul_lo_u32 v8, s2, v7
	v_mul_hi_u32 v9, s2, v2
	v_mul_lo_u32 v10, s20, v2
	s_delay_alu instid0(VALU_DEP_2) | instskip(SKIP_1) | instid1(VALU_DEP_2)
	v_add_nc_u32_e32 v8, v9, v8
	v_mul_lo_u32 v9, s2, v2
	v_add_nc_u32_e32 v8, v8, v10
	s_delay_alu instid0(VALU_DEP_2) | instskip(NEXT) | instid1(VALU_DEP_2)
	v_mul_hi_u32 v10, v2, v9
	v_mul_lo_u32 v11, v2, v8
	v_mul_hi_u32 v12, v2, v8
	v_mul_hi_u32 v13, v7, v9
	v_mul_lo_u32 v9, v7, v9
	v_mul_hi_u32 v14, v7, v8
	v_mul_lo_u32 v8, v7, v8
	v_add_co_u32 v10, vcc_lo, v10, v11
	v_add_co_ci_u32_e32 v11, vcc_lo, 0, v12, vcc_lo
	s_delay_alu instid0(VALU_DEP_2) | instskip(NEXT) | instid1(VALU_DEP_2)
	v_add_co_u32 v9, vcc_lo, v10, v9
	v_add_co_ci_u32_e32 v9, vcc_lo, v11, v13, vcc_lo
	v_add_co_ci_u32_e32 v10, vcc_lo, 0, v14, vcc_lo
	s_delay_alu instid0(VALU_DEP_2) | instskip(NEXT) | instid1(VALU_DEP_2)
	v_add_co_u32 v8, vcc_lo, v9, v8
	v_add_co_ci_u32_e32 v9, vcc_lo, 0, v10, vcc_lo
	s_delay_alu instid0(VALU_DEP_2) | instskip(NEXT) | instid1(VALU_DEP_2)
	v_add_co_u32 v2, vcc_lo, v2, v8
	v_add_co_ci_u32_e32 v7, vcc_lo, v7, v9, vcc_lo
	s_delay_alu instid0(VALU_DEP_2) | instskip(SKIP_1) | instid1(VALU_DEP_3)
	v_mul_hi_u32 v8, s2, v2
	v_mul_lo_u32 v10, s20, v2
	v_mul_lo_u32 v9, s2, v7
	s_delay_alu instid0(VALU_DEP_1) | instskip(SKIP_1) | instid1(VALU_DEP_2)
	v_add_nc_u32_e32 v8, v8, v9
	v_mul_lo_u32 v9, s2, v2
	v_add_nc_u32_e32 v8, v8, v10
	s_delay_alu instid0(VALU_DEP_2) | instskip(NEXT) | instid1(VALU_DEP_2)
	v_mul_hi_u32 v10, v2, v9
	v_mul_lo_u32 v11, v2, v8
	v_mul_hi_u32 v12, v2, v8
	v_mul_hi_u32 v13, v7, v9
	v_mul_lo_u32 v9, v7, v9
	v_mul_hi_u32 v14, v7, v8
	v_mul_lo_u32 v8, v7, v8
	v_add_co_u32 v10, vcc_lo, v10, v11
	v_add_co_ci_u32_e32 v11, vcc_lo, 0, v12, vcc_lo
	s_delay_alu instid0(VALU_DEP_2) | instskip(NEXT) | instid1(VALU_DEP_2)
	v_add_co_u32 v9, vcc_lo, v10, v9
	v_add_co_ci_u32_e32 v9, vcc_lo, v11, v13, vcc_lo
	v_add_co_ci_u32_e32 v10, vcc_lo, 0, v14, vcc_lo
	s_delay_alu instid0(VALU_DEP_2) | instskip(NEXT) | instid1(VALU_DEP_2)
	v_add_co_u32 v8, vcc_lo, v9, v8
	v_add_co_ci_u32_e32 v9, vcc_lo, 0, v10, vcc_lo
	s_delay_alu instid0(VALU_DEP_2) | instskip(NEXT) | instid1(VALU_DEP_2)
	v_add_co_u32 v2, vcc_lo, v2, v8
	v_add_co_ci_u32_e32 v13, vcc_lo, v7, v9, vcc_lo
	s_delay_alu instid0(VALU_DEP_2) | instskip(SKIP_1) | instid1(VALU_DEP_3)
	v_mul_hi_u32 v14, v5, v2
	v_mad_u64_u32 v[9:10], null, v6, v2, 0
	v_mad_u64_u32 v[7:8], null, v5, v13, 0
	;; [unrolled: 1-line block ×3, first 2 shown]
	s_delay_alu instid0(VALU_DEP_2) | instskip(NEXT) | instid1(VALU_DEP_3)
	v_add_co_u32 v2, vcc_lo, v14, v7
	v_add_co_ci_u32_e32 v7, vcc_lo, 0, v8, vcc_lo
	s_delay_alu instid0(VALU_DEP_2) | instskip(NEXT) | instid1(VALU_DEP_2)
	v_add_co_u32 v2, vcc_lo, v2, v9
	v_add_co_ci_u32_e32 v2, vcc_lo, v7, v10, vcc_lo
	v_add_co_ci_u32_e32 v7, vcc_lo, 0, v12, vcc_lo
	s_delay_alu instid0(VALU_DEP_2) | instskip(NEXT) | instid1(VALU_DEP_2)
	v_add_co_u32 v2, vcc_lo, v2, v11
	v_add_co_ci_u32_e32 v9, vcc_lo, 0, v7, vcc_lo
	s_delay_alu instid0(VALU_DEP_2) | instskip(SKIP_1) | instid1(VALU_DEP_3)
	v_mul_lo_u32 v10, s19, v2
	v_mad_u64_u32 v[7:8], null, s18, v2, 0
	v_mul_lo_u32 v11, s18, v9
	s_delay_alu instid0(VALU_DEP_2) | instskip(NEXT) | instid1(VALU_DEP_2)
	v_sub_co_u32 v7, vcc_lo, v5, v7
	v_add3_u32 v8, v8, v11, v10
	s_delay_alu instid0(VALU_DEP_1) | instskip(NEXT) | instid1(VALU_DEP_1)
	v_sub_nc_u32_e32 v10, v6, v8
	v_subrev_co_ci_u32_e64 v10, s2, s19, v10, vcc_lo
	v_add_co_u32 v11, s2, v2, 2
	s_delay_alu instid0(VALU_DEP_1) | instskip(SKIP_3) | instid1(VALU_DEP_3)
	v_add_co_ci_u32_e64 v12, s2, 0, v9, s2
	v_sub_co_u32 v13, s2, v7, s18
	v_sub_co_ci_u32_e32 v8, vcc_lo, v6, v8, vcc_lo
	v_subrev_co_ci_u32_e64 v10, s2, 0, v10, s2
	v_cmp_le_u32_e32 vcc_lo, s18, v13
	s_delay_alu instid0(VALU_DEP_3) | instskip(SKIP_1) | instid1(VALU_DEP_4)
	v_cmp_eq_u32_e64 s2, s19, v8
	v_cndmask_b32_e64 v13, 0, -1, vcc_lo
	v_cmp_le_u32_e32 vcc_lo, s19, v10
	v_cndmask_b32_e64 v14, 0, -1, vcc_lo
	v_cmp_le_u32_e32 vcc_lo, s18, v7
	;; [unrolled: 2-line block ×3, first 2 shown]
	v_cndmask_b32_e64 v15, 0, -1, vcc_lo
	v_cmp_eq_u32_e32 vcc_lo, s19, v10
	s_delay_alu instid0(VALU_DEP_2) | instskip(SKIP_3) | instid1(VALU_DEP_3)
	v_cndmask_b32_e64 v7, v15, v7, s2
	v_cndmask_b32_e32 v10, v14, v13, vcc_lo
	v_add_co_u32 v13, vcc_lo, v2, 1
	v_add_co_ci_u32_e32 v14, vcc_lo, 0, v9, vcc_lo
	v_cmp_ne_u32_e32 vcc_lo, 0, v10
	s_delay_alu instid0(VALU_DEP_2) | instskip(NEXT) | instid1(VALU_DEP_4)
	v_cndmask_b32_e32 v8, v14, v12, vcc_lo
	v_cndmask_b32_e32 v10, v13, v11, vcc_lo
	v_cmp_ne_u32_e32 vcc_lo, 0, v7
	s_delay_alu instid0(VALU_DEP_2)
	v_dual_cndmask_b32 v7, v2, v10 :: v_dual_cndmask_b32 v8, v9, v8
.LBB0_4:                                ;   in Loop: Header=BB0_2 Depth=1
	s_and_not1_saveexec_b32 s2, s3
	s_cbranch_execz .LBB0_6
; %bb.5:                                ;   in Loop: Header=BB0_2 Depth=1
	v_cvt_f32_u32_e32 v2, s18
	s_sub_i32 s3, 0, s18
	s_delay_alu instid0(VALU_DEP_1) | instskip(SKIP_2) | instid1(VALU_DEP_1)
	v_rcp_iflag_f32_e32 v2, v2
	s_waitcnt_depctr 0xfff
	v_mul_f32_e32 v2, 0x4f7ffffe, v2
	v_cvt_u32_f32_e32 v2, v2
	s_delay_alu instid0(VALU_DEP_1) | instskip(NEXT) | instid1(VALU_DEP_1)
	v_mul_lo_u32 v7, s3, v2
	v_mul_hi_u32 v7, v2, v7
	s_delay_alu instid0(VALU_DEP_1) | instskip(NEXT) | instid1(VALU_DEP_1)
	v_add_nc_u32_e32 v2, v2, v7
	v_mul_hi_u32 v2, v5, v2
	s_delay_alu instid0(VALU_DEP_1) | instskip(SKIP_1) | instid1(VALU_DEP_2)
	v_mul_lo_u32 v7, v2, s18
	v_add_nc_u32_e32 v8, 1, v2
	v_sub_nc_u32_e32 v7, v5, v7
	s_delay_alu instid0(VALU_DEP_1) | instskip(SKIP_1) | instid1(VALU_DEP_2)
	v_subrev_nc_u32_e32 v9, s18, v7
	v_cmp_le_u32_e32 vcc_lo, s18, v7
	v_dual_cndmask_b32 v7, v7, v9 :: v_dual_cndmask_b32 v2, v2, v8
	s_delay_alu instid0(VALU_DEP_1) | instskip(NEXT) | instid1(VALU_DEP_2)
	v_cmp_le_u32_e32 vcc_lo, s18, v7
	v_add_nc_u32_e32 v8, 1, v2
	s_delay_alu instid0(VALU_DEP_1)
	v_dual_cndmask_b32 v7, v2, v8 :: v_dual_mov_b32 v8, v1
.LBB0_6:                                ;   in Loop: Header=BB0_2 Depth=1
	s_or_b32 exec_lo, exec_lo, s2
	s_load_b64 s[2:3], s[12:13], 0x0
	s_delay_alu instid0(VALU_DEP_1) | instskip(NEXT) | instid1(VALU_DEP_2)
	v_mul_lo_u32 v2, v8, s18
	v_mul_lo_u32 v11, v7, s19
	v_mad_u64_u32 v[9:10], null, v7, s18, 0
	s_add_u32 s16, s16, 1
	s_addc_u32 s17, s17, 0
	s_add_u32 s12, s12, 8
	s_addc_u32 s13, s13, 0
	;; [unrolled: 2-line block ×3, first 2 shown]
	s_delay_alu instid0(VALU_DEP_1) | instskip(SKIP_1) | instid1(VALU_DEP_2)
	v_add3_u32 v2, v10, v11, v2
	v_sub_co_u32 v9, vcc_lo, v5, v9
	v_sub_co_ci_u32_e32 v2, vcc_lo, v6, v2, vcc_lo
	s_waitcnt lgkmcnt(0)
	s_delay_alu instid0(VALU_DEP_2) | instskip(NEXT) | instid1(VALU_DEP_2)
	v_mul_lo_u32 v10, s3, v9
	v_mul_lo_u32 v2, s2, v2
	v_mad_u64_u32 v[5:6], null, s2, v9, v[3:4]
	v_cmp_ge_u64_e64 s2, s[16:17], s[6:7]
	s_delay_alu instid0(VALU_DEP_1) | instskip(NEXT) | instid1(VALU_DEP_2)
	s_and_b32 vcc_lo, exec_lo, s2
	v_add3_u32 v4, v10, v6, v2
	s_delay_alu instid0(VALU_DEP_3)
	v_mov_b32_e32 v3, v5
	s_cbranch_vccnz .LBB0_9
; %bb.7:                                ;   in Loop: Header=BB0_2 Depth=1
	v_dual_mov_b32 v5, v7 :: v_dual_mov_b32 v6, v8
	s_branch .LBB0_2
.LBB0_8:
	v_dual_mov_b32 v8, v6 :: v_dual_mov_b32 v7, v5
.LBB0_9:
	s_lshl_b64 s[2:3], s[6:7], 3
	s_delay_alu instid0(SALU_CYCLE_1)
	s_add_u32 s2, s10, s2
	s_addc_u32 s3, s11, s3
	s_load_b64 s[2:3], s[2:3], 0x0
	s_load_b64 s[0:1], s[0:1], 0x20
	s_waitcnt lgkmcnt(0)
	v_mul_lo_u32 v5, s2, v8
	v_mul_lo_u32 v6, s3, v7
	v_mad_u64_u32 v[1:2], null, s2, v7, v[3:4]
	v_mul_hi_u32 v3, 0x25ed098, v0
	v_cmp_gt_u64_e32 vcc_lo, s[0:1], v[7:8]
	s_delay_alu instid0(VALU_DEP_3) | instskip(NEXT) | instid1(VALU_DEP_3)
	v_add3_u32 v2, v6, v2, v5
	v_mul_u32_u24_e32 v3, 0x6c, v3
	s_delay_alu instid0(VALU_DEP_2) | instskip(NEXT) | instid1(VALU_DEP_2)
	v_lshlrev_b64 v[6:7], 4, v[1:2]
	v_sub_nc_u32_e32 v4, v0, v3
	s_and_saveexec_b32 s1, vcc_lo
	s_cbranch_execz .LBB0_13
; %bb.10:
	v_mov_b32_e32 v5, 0
	s_delay_alu instid0(VALU_DEP_3) | instskip(NEXT) | instid1(VALU_DEP_1)
	v_add_co_u32 v0, s0, s8, v6
	v_add_co_ci_u32_e64 v1, s0, s9, v7, s0
	s_delay_alu instid0(VALU_DEP_3) | instskip(SKIP_1) | instid1(VALU_DEP_1)
	v_lshlrev_b64 v[2:3], 4, v[4:5]
	s_mov_b32 s2, exec_lo
	v_add_co_u32 v2, s0, v0, v2
	s_delay_alu instid0(VALU_DEP_1) | instskip(NEXT) | instid1(VALU_DEP_2)
	v_add_co_ci_u32_e64 v3, s0, v1, v3, s0
	v_add_co_u32 v24, s0, 0x1000, v2
	s_delay_alu instid0(VALU_DEP_1) | instskip(SKIP_1) | instid1(VALU_DEP_1)
	v_add_co_ci_u32_e64 v25, s0, 0, v3, s0
	v_add_co_u32 v36, s0, 0x2000, v2
	v_add_co_ci_u32_e64 v37, s0, 0, v3, s0
	v_add_co_u32 v44, s0, 0x3000, v2
	s_delay_alu instid0(VALU_DEP_1)
	v_add_co_ci_u32_e64 v45, s0, 0, v3, s0
	s_clause 0x5
	global_load_b128 v[8:11], v[2:3], off
	global_load_b128 v[12:15], v[2:3], off offset:1728
	global_load_b128 v[16:19], v[2:3], off offset:3456
	;; [unrolled: 1-line block ×5, first 2 shown]
	v_add_co_u32 v2, s0, 0x4000, v2
	s_delay_alu instid0(VALU_DEP_1)
	v_add_co_ci_u32_e64 v3, s0, 0, v3, s0
	s_clause 0x5
	global_load_b128 v[32:35], v[36:37], off offset:2176
	global_load_b128 v[36:39], v[36:37], off offset:3904
	;; [unrolled: 1-line block ×6, first 2 shown]
	v_lshl_add_u32 v2, v4, 4, 0
	s_waitcnt vmcnt(11)
	ds_store_b128 v2, v[8:11]
	s_waitcnt vmcnt(10)
	ds_store_b128 v2, v[12:15] offset:1728
	s_waitcnt vmcnt(9)
	ds_store_b128 v2, v[16:19] offset:3456
	s_waitcnt vmcnt(8)
	ds_store_b128 v2, v[20:23] offset:5184
	s_waitcnt vmcnt(7)
	ds_store_b128 v2, v[24:27] offset:6912
	s_waitcnt vmcnt(6)
	ds_store_b128 v2, v[28:31] offset:8640
	s_waitcnt vmcnt(5)
	ds_store_b128 v2, v[32:35] offset:10368
	s_waitcnt vmcnt(4)
	ds_store_b128 v2, v[36:39] offset:12096
	s_waitcnt vmcnt(3)
	ds_store_b128 v2, v[40:43] offset:13824
	s_waitcnt vmcnt(2)
	ds_store_b128 v2, v[44:47] offset:15552
	s_waitcnt vmcnt(1)
	ds_store_b128 v2, v[48:51] offset:17280
	s_waitcnt vmcnt(0)
	ds_store_b128 v2, v[52:55] offset:19008
	v_cmpx_eq_u32_e32 0x6b, v4
	s_cbranch_execz .LBB0_12
; %bb.11:
	v_add_co_u32 v0, s0, 0x5000, v0
	s_delay_alu instid0(VALU_DEP_1)
	v_add_co_ci_u32_e64 v1, s0, 0, v1, s0
	v_mov_b32_e32 v4, 0x6b
	global_load_b128 v[0:3], v[0:1], off offset:256
	s_waitcnt vmcnt(0)
	ds_store_b128 v5, v[0:3] offset:20736
.LBB0_12:
	s_or_b32 exec_lo, exec_lo, s2
.LBB0_13:
	s_delay_alu instid0(SALU_CYCLE_1) | instskip(NEXT) | instid1(VALU_DEP_1)
	s_or_b32 exec_lo, exec_lo, s1
	v_lshlrev_b32_e32 v0, 4, v4
	s_waitcnt lgkmcnt(0)
	s_barrier
	buffer_gl0_inv
	s_add_u32 s1, s4, 0x50a0
	v_add_nc_u32_e32 v14, 0, v0
	v_sub_nc_u32_e32 v15, 0, v0
	s_addc_u32 s2, s5, 0
	s_mov_b32 s3, exec_lo
                                        ; implicit-def: $vgpr8_vgpr9
	ds_load_b64 v[10:11], v14
	ds_load_b64 v[12:13], v15 offset:20736
	s_waitcnt lgkmcnt(0)
	v_add_f64 v[0:1], v[10:11], v[12:13]
	v_add_f64 v[2:3], v[10:11], -v[12:13]
	v_cmpx_ne_u32_e32 0, v4
	s_xor_b32 s3, exec_lo, s3
	s_cbranch_execz .LBB0_15
; %bb.14:
	v_mov_b32_e32 v5, 0
	v_add_f64 v[8:9], v[10:11], v[12:13]
	v_add_f64 v[20:21], v[10:11], -v[12:13]
	s_delay_alu instid0(VALU_DEP_3) | instskip(NEXT) | instid1(VALU_DEP_1)
	v_lshlrev_b64 v[0:1], 4, v[4:5]
	v_add_co_u32 v0, s0, s1, v0
	s_delay_alu instid0(VALU_DEP_1)
	v_add_co_ci_u32_e64 v1, s0, s2, v1, s0
	global_load_b128 v[16:19], v[0:1], off
	ds_load_b64 v[0:1], v15 offset:20744
	ds_load_b64 v[2:3], v14 offset:8
	s_waitcnt lgkmcnt(0)
	v_add_f64 v[10:11], v[0:1], v[2:3]
	v_add_f64 v[0:1], v[2:3], -v[0:1]
	s_waitcnt vmcnt(0)
	v_fma_f64 v[2:3], v[20:21], v[18:19], v[8:9]
	v_fma_f64 v[8:9], -v[20:21], v[18:19], v[8:9]
	s_delay_alu instid0(VALU_DEP_3) | instskip(SKIP_1) | instid1(VALU_DEP_4)
	v_fma_f64 v[12:13], v[10:11], v[18:19], -v[0:1]
	v_fma_f64 v[18:19], v[10:11], v[18:19], v[0:1]
	v_fma_f64 v[0:1], -v[10:11], v[16:17], v[2:3]
	s_delay_alu instid0(VALU_DEP_4) | instskip(NEXT) | instid1(VALU_DEP_4)
	v_fma_f64 v[10:11], v[10:11], v[16:17], v[8:9]
	v_fma_f64 v[12:13], v[20:21], v[16:17], v[12:13]
	s_delay_alu instid0(VALU_DEP_4)
	v_fma_f64 v[2:3], v[20:21], v[16:17], v[18:19]
	v_dual_mov_b32 v9, v5 :: v_dual_mov_b32 v8, v4
	ds_store_b128 v15, v[10:13] offset:20736
.LBB0_15:
	s_and_not1_saveexec_b32 s0, s3
	s_cbranch_execz .LBB0_17
; %bb.16:
	v_mov_b32_e32 v5, 0
	ds_load_b128 v[8:11], v5 offset:10368
	s_waitcnt lgkmcnt(0)
	v_add_f64 v[16:17], v[8:9], v[8:9]
	v_mov_b32_e32 v8, 0
	v_mul_f64 v[18:19], v[10:11], -2.0
	v_mov_b32_e32 v9, 0
	ds_store_b128 v5, v[16:19] offset:10368
.LBB0_17:
	s_or_b32 exec_lo, exec_lo, s0
	v_lshlrev_b64 v[8:9], 4, v[8:9]
	s_mov_b32 s6, 0xe8584caa
	s_mov_b32 s7, 0xbfebb67a
	;; [unrolled: 1-line block ×3, first 2 shown]
	v_mad_u32_u24 v5, 0x50, v4, v14
	s_delay_alu instid0(VALU_DEP_2) | instskip(NEXT) | instid1(VALU_DEP_1)
	v_add_co_u32 v28, s0, s1, v8
	v_add_co_ci_u32_e64 v29, s0, s2, v9, s0
	s_mov_b32 s2, s6
	s_delay_alu instid0(VALU_DEP_2)
	v_add_co_u32 v30, s0, 0x1000, v28
	s_clause 0x1
	global_load_b128 v[8:11], v[28:29], off offset:1728
	global_load_b128 v[16:19], v[28:29], off offset:3456
	ds_store_b128 v14, v[0:3]
	ds_load_b128 v[0:3], v14 offset:1728
	ds_load_b128 v[20:23], v15 offset:19008
	v_add_co_ci_u32_e64 v31, s0, 0, v29, s0
	global_load_b128 v[24:27], v[30:31], off offset:1088
	s_waitcnt lgkmcnt(0)
	v_add_f64 v[12:13], v[0:1], v[20:21]
	v_add_f64 v[32:33], v[22:23], v[2:3]
	v_add_f64 v[20:21], v[0:1], -v[20:21]
	v_add_f64 v[0:1], v[2:3], -v[22:23]
	s_waitcnt vmcnt(2)
	s_delay_alu instid0(VALU_DEP_2) | instskip(NEXT) | instid1(VALU_DEP_2)
	v_fma_f64 v[2:3], v[20:21], v[10:11], v[12:13]
	v_fma_f64 v[22:23], v[32:33], v[10:11], v[0:1]
	v_fma_f64 v[12:13], -v[20:21], v[10:11], v[12:13]
	v_fma_f64 v[34:35], v[32:33], v[10:11], -v[0:1]
	s_delay_alu instid0(VALU_DEP_4) | instskip(NEXT) | instid1(VALU_DEP_4)
	v_fma_f64 v[0:1], -v[32:33], v[8:9], v[2:3]
	v_fma_f64 v[2:3], v[20:21], v[8:9], v[22:23]
	s_delay_alu instid0(VALU_DEP_4) | instskip(NEXT) | instid1(VALU_DEP_4)
	v_fma_f64 v[10:11], v[32:33], v[8:9], v[12:13]
	v_fma_f64 v[12:13], v[20:21], v[8:9], v[34:35]
	ds_store_b128 v14, v[0:3] offset:1728
	ds_store_b128 v15, v[10:13] offset:19008
	ds_load_b128 v[0:3], v14 offset:3456
	ds_load_b128 v[8:11], v15 offset:17280
	global_load_b128 v[20:23], v[30:31], off offset:2816
	s_waitcnt lgkmcnt(0)
	v_add_f64 v[12:13], v[0:1], v[8:9]
	v_add_f64 v[30:31], v[10:11], v[2:3]
	v_add_f64 v[32:33], v[0:1], -v[8:9]
	v_add_f64 v[0:1], v[2:3], -v[10:11]
	s_waitcnt vmcnt(2)
	s_delay_alu instid0(VALU_DEP_2) | instskip(NEXT) | instid1(VALU_DEP_2)
	v_fma_f64 v[2:3], v[32:33], v[18:19], v[12:13]
	v_fma_f64 v[8:9], v[30:31], v[18:19], v[0:1]
	v_fma_f64 v[10:11], -v[32:33], v[18:19], v[12:13]
	v_fma_f64 v[12:13], v[30:31], v[18:19], -v[0:1]
	s_delay_alu instid0(VALU_DEP_4) | instskip(NEXT) | instid1(VALU_DEP_4)
	v_fma_f64 v[0:1], -v[30:31], v[16:17], v[2:3]
	v_fma_f64 v[2:3], v[32:33], v[16:17], v[8:9]
	s_delay_alu instid0(VALU_DEP_4) | instskip(NEXT) | instid1(VALU_DEP_4)
	v_fma_f64 v[8:9], v[30:31], v[16:17], v[10:11]
	v_fma_f64 v[10:11], v[32:33], v[16:17], v[12:13]
	v_add_co_u32 v12, s0, 0x2000, v28
	s_delay_alu instid0(VALU_DEP_1)
	v_add_co_ci_u32_e64 v13, s0, 0, v29, s0
	ds_store_b128 v14, v[0:3] offset:3456
	ds_store_b128 v15, v[8:11] offset:17280
	ds_load_b128 v[0:3], v14 offset:5184
	ds_load_b128 v[8:11], v15 offset:15552
	global_load_b128 v[16:19], v[12:13], off offset:448
	s_waitcnt lgkmcnt(0)
	v_add_f64 v[12:13], v[0:1], v[8:9]
	v_add_f64 v[28:29], v[10:11], v[2:3]
	v_add_f64 v[30:31], v[0:1], -v[8:9]
	v_add_f64 v[0:1], v[2:3], -v[10:11]
	s_waitcnt vmcnt(2)
	s_delay_alu instid0(VALU_DEP_2) | instskip(NEXT) | instid1(VALU_DEP_2)
	v_fma_f64 v[2:3], v[30:31], v[26:27], v[12:13]
	v_fma_f64 v[8:9], v[28:29], v[26:27], v[0:1]
	v_fma_f64 v[10:11], -v[30:31], v[26:27], v[12:13]
	v_fma_f64 v[12:13], v[28:29], v[26:27], -v[0:1]
	s_delay_alu instid0(VALU_DEP_4) | instskip(NEXT) | instid1(VALU_DEP_4)
	v_fma_f64 v[0:1], -v[28:29], v[24:25], v[2:3]
	v_fma_f64 v[2:3], v[30:31], v[24:25], v[8:9]
	s_delay_alu instid0(VALU_DEP_4) | instskip(NEXT) | instid1(VALU_DEP_4)
	v_fma_f64 v[8:9], v[28:29], v[24:25], v[10:11]
	v_fma_f64 v[10:11], v[30:31], v[24:25], v[12:13]
	ds_store_b128 v14, v[0:3] offset:5184
	ds_store_b128 v15, v[8:11] offset:15552
	ds_load_b128 v[0:3], v14 offset:6912
	ds_load_b128 v[8:11], v15 offset:13824
	s_waitcnt lgkmcnt(0)
	v_add_f64 v[12:13], v[0:1], v[8:9]
	v_add_f64 v[24:25], v[10:11], v[2:3]
	v_add_f64 v[26:27], v[0:1], -v[8:9]
	v_add_f64 v[0:1], v[2:3], -v[10:11]
	s_waitcnt vmcnt(1)
	s_delay_alu instid0(VALU_DEP_2) | instskip(NEXT) | instid1(VALU_DEP_2)
	v_fma_f64 v[2:3], v[26:27], v[22:23], v[12:13]
	v_fma_f64 v[8:9], v[24:25], v[22:23], v[0:1]
	v_fma_f64 v[10:11], -v[26:27], v[22:23], v[12:13]
	v_fma_f64 v[12:13], v[24:25], v[22:23], -v[0:1]
	s_delay_alu instid0(VALU_DEP_4) | instskip(NEXT) | instid1(VALU_DEP_4)
	v_fma_f64 v[0:1], -v[24:25], v[20:21], v[2:3]
	v_fma_f64 v[2:3], v[26:27], v[20:21], v[8:9]
	s_delay_alu instid0(VALU_DEP_4) | instskip(NEXT) | instid1(VALU_DEP_4)
	v_fma_f64 v[8:9], v[24:25], v[20:21], v[10:11]
	v_fma_f64 v[10:11], v[26:27], v[20:21], v[12:13]
	ds_store_b128 v14, v[0:3] offset:6912
	ds_store_b128 v15, v[8:11] offset:13824
	ds_load_b128 v[0:3], v14 offset:8640
	ds_load_b128 v[8:11], v15 offset:12096
	s_waitcnt lgkmcnt(0)
	v_add_f64 v[12:13], v[0:1], v[8:9]
	v_add_f64 v[20:21], v[10:11], v[2:3]
	v_add_f64 v[22:23], v[0:1], -v[8:9]
	v_add_f64 v[0:1], v[2:3], -v[10:11]
	s_waitcnt vmcnt(0)
	s_delay_alu instid0(VALU_DEP_2) | instskip(NEXT) | instid1(VALU_DEP_2)
	v_fma_f64 v[2:3], v[22:23], v[18:19], v[12:13]
	v_fma_f64 v[8:9], v[20:21], v[18:19], v[0:1]
	v_fma_f64 v[10:11], -v[22:23], v[18:19], v[12:13]
	v_fma_f64 v[12:13], v[20:21], v[18:19], -v[0:1]
	s_delay_alu instid0(VALU_DEP_4) | instskip(NEXT) | instid1(VALU_DEP_4)
	v_fma_f64 v[0:1], -v[20:21], v[16:17], v[2:3]
	v_fma_f64 v[2:3], v[22:23], v[16:17], v[8:9]
	s_delay_alu instid0(VALU_DEP_4) | instskip(NEXT) | instid1(VALU_DEP_4)
	v_fma_f64 v[8:9], v[20:21], v[16:17], v[10:11]
	v_fma_f64 v[10:11], v[22:23], v[16:17], v[12:13]
	ds_store_b128 v14, v[0:3] offset:8640
	ds_store_b128 v15, v[8:11] offset:12096
	s_waitcnt lgkmcnt(0)
	s_barrier
	buffer_gl0_inv
	s_barrier
	buffer_gl0_inv
	ds_load_b128 v[0:3], v14 offset:17280
	ds_load_b128 v[8:11], v14 offset:10368
	;; [unrolled: 1-line block ×6, first 2 shown]
	s_waitcnt lgkmcnt(4)
	v_add_f64 v[12:13], v[10:11], v[2:3]
	v_add_f64 v[47:48], v[8:9], v[0:1]
	s_waitcnt lgkmcnt(2)
	v_add_f64 v[31:32], v[17:18], v[21:22]
	v_add_f64 v[49:50], v[8:9], -v[0:1]
	v_add_f64 v[51:52], v[15:16], v[19:20]
	v_add_f64 v[55:56], v[15:16], -v[19:20]
	v_add_f64 v[63:64], v[10:11], -v[2:3]
	;; [unrolled: 1-line block ×3, first 2 shown]
	s_waitcnt lgkmcnt(1)
	v_add_f64 v[8:9], v[23:24], v[8:9]
	v_add_f64 v[10:11], v[25:26], v[10:11]
	s_waitcnt lgkmcnt(0)
	v_add_f64 v[15:16], v[27:28], v[15:16]
	v_add_f64 v[17:18], v[29:30], v[17:18]
	v_fma_f64 v[12:13], v[12:13], -0.5, v[25:26]
	v_fma_f64 v[65:66], v[47:48], -0.5, v[23:24]
	v_fma_f64 v[57:58], v[31:32], -0.5, v[29:30]
	ds_load_b128 v[31:34], v14 offset:13824
	ds_load_b128 v[35:38], v14 offset:6912
	ds_load_b128 v[39:42], v14 offset:8640
	ds_load_b128 v[43:46], v14 offset:15552
	v_fma_f64 v[75:76], v[51:52], -0.5, v[27:28]
	ds_load_b128 v[51:54], v14 offset:1728
	s_waitcnt lgkmcnt(3)
	v_add_f64 v[59:60], v[35:36], v[31:32]
	v_add_f64 v[61:62], v[37:38], v[33:34]
	s_waitcnt lgkmcnt(1)
	v_add_f64 v[69:70], v[39:40], v[43:44]
	v_add_f64 v[71:72], v[41:42], v[45:46]
	v_add_f64 v[79:80], v[37:38], -v[33:34]
	v_add_f64 v[25:26], v[41:42], -v[45:46]
	s_waitcnt lgkmcnt(0)
	v_add_f64 v[41:42], v[53:54], v[41:42]
	v_add_f64 v[23:24], v[51:52], v[39:40]
	v_add_f64 v[39:40], v[39:40], -v[43:44]
	v_fma_f64 v[67:68], v[49:50], s[2:3], v[12:13]
	v_fma_f64 v[12:13], v[49:50], s[6:7], v[12:13]
	;; [unrolled: 1-line block ×4, first 2 shown]
	ds_load_b128 v[47:50], v14
	s_waitcnt lgkmcnt(0)
	s_barrier
	buffer_gl0_inv
	v_fma_f64 v[51:52], v[69:70], -0.5, v[51:52]
	v_add_f64 v[57:58], v[47:48], v[35:36]
	v_add_f64 v[37:38], v[49:50], v[37:38]
	v_add_f64 v[35:36], v[35:36], -v[31:32]
	v_fma_f64 v[27:28], v[59:60], -0.5, v[47:48]
	v_fma_f64 v[29:30], v[61:62], -0.5, v[49:50]
	v_fma_f64 v[47:48], v[63:64], s[6:7], v[65:66]
	v_fma_f64 v[49:50], v[63:64], s[2:3], v[65:66]
	v_fma_f64 v[53:54], v[71:72], -0.5, v[53:54]
	v_fma_f64 v[65:66], v[73:74], s[6:7], v[75:76]
	v_add_f64 v[41:42], v[41:42], v[45:46]
	v_add_f64 v[45:46], v[17:18], v[21:22]
	;; [unrolled: 1-line block ×4, first 2 shown]
	v_mul_f64 v[59:60], v[67:68], s[6:7]
	v_mul_f64 v[63:64], v[67:68], 0.5
	v_mul_f64 v[61:62], v[12:13], s[6:7]
	v_mul_f64 v[12:13], v[12:13], -0.5
	v_fma_f64 v[67:68], v[73:74], s[2:3], v[75:76]
	v_mul_f64 v[69:70], v[77:78], s[6:7]
	v_mul_f64 v[73:74], v[77:78], 0.5
	v_mul_f64 v[71:72], v[55:56], s[6:7]
	v_mul_f64 v[55:56], v[55:56], -0.5
	v_add_f64 v[31:32], v[57:58], v[31:32]
	v_add_f64 v[33:34], v[37:38], v[33:34]
	;; [unrolled: 1-line block ×4, first 2 shown]
	v_fma_f64 v[57:58], v[79:80], s[6:7], v[27:28]
	v_fma_f64 v[75:76], v[79:80], s[2:3], v[27:28]
	;; [unrolled: 1-line block ×6, first 2 shown]
	v_and_b32_e32 v3, 0xff, v4
	v_add_f64 v[21:22], v[41:42], v[45:46]
	v_add_f64 v[19:20], v[23:24], v[43:44]
	v_add_f64 v[23:24], v[23:24], -v[43:44]
	v_fma_f64 v[35:36], v[47:48], 0.5, v[59:60]
	v_fma_f64 v[47:48], v[47:48], s[2:3], v[63:64]
	v_fma_f64 v[59:60], v[49:50], -0.5, v[61:62]
	v_fma_f64 v[12:13], v[49:50], s[2:3], v[12:13]
	v_fma_f64 v[61:62], v[25:26], s[6:7], v[51:52]
	;; [unrolled: 1-line block ×3, first 2 shown]
	v_fma_f64 v[51:52], v[65:66], 0.5, v[69:70]
	v_fma_f64 v[65:66], v[65:66], s[2:3], v[73:74]
	v_fma_f64 v[53:54], v[67:68], -0.5, v[71:72]
	v_fma_f64 v[67:68], v[67:68], s[2:3], v[55:56]
	v_mul_lo_u16 v0, 0xab, v3
	v_add_f64 v[25:26], v[41:42], -v[45:46]
	v_mul_lo_u16 v3, v3, 57
	s_delay_alu instid0(VALU_DEP_3)
	v_lshrrev_b16 v0, 10, v0
	v_add_f64 v[8:9], v[31:32], v[37:38]
	v_add_f64 v[10:11], v[33:34], v[1:2]
	v_add_f64 v[15:16], v[31:32], -v[37:38]
	v_add_f64 v[17:18], v[33:34], -v[1:2]
	v_mul_lo_u16 v1, v0, 6
	s_delay_alu instid0(VALU_DEP_1)
	v_sub_nc_u16 v1, v4, v1
	v_add_f64 v[27:28], v[57:58], v[35:36]
	v_add_f64 v[29:30], v[77:78], v[47:48]
	;; [unrolled: 1-line block ×4, first 2 shown]
	v_add_f64 v[35:36], v[57:58], -v[35:36]
	v_add_f64 v[37:38], v[77:78], -v[47:48]
	;; [unrolled: 1-line block ×4, first 2 shown]
	v_add_f64 v[43:44], v[61:62], v[51:52]
	v_add_f64 v[45:46], v[81:82], v[65:66]
	;; [unrolled: 1-line block ×4, first 2 shown]
	v_add_f64 v[51:52], v[61:62], -v[51:52]
	v_add_f64 v[55:56], v[63:64], -v[53:54]
	;; [unrolled: 1-line block ×4, first 2 shown]
	v_and_b32_e32 v1, 0xff, v1
	ds_store_b128 v5, v[8:11]
	ds_store_b128 v5, v[27:30] offset:16
	ds_store_b128 v5, v[31:34] offset:32
	;; [unrolled: 1-line block ×11, first 2 shown]
	v_mul_u32_u24_e32 v2, 5, v1
	s_waitcnt lgkmcnt(0)
	s_barrier
	buffer_gl0_inv
	v_lshlrev_b32_e32 v1, 4, v1
	v_lshlrev_b32_e32 v59, 4, v2
	v_add_nc_u16 v2, v4, 0x6c
	s_clause 0x1
	global_load_b128 v[10:13], v59, s[4:5] offset:16
	global_load_b128 v[15:18], v59, s[4:5] offset:32
	v_and_b32_e32 v8, 0xff, v2
	global_load_b128 v[19:22], v59, s[4:5] offset:48
	v_mul_lo_u16 v5, 0xab, v8
	v_mul_lo_u16 v8, v8, 57
	s_delay_alu instid0(VALU_DEP_2) | instskip(NEXT) | instid1(VALU_DEP_1)
	v_lshrrev_b16 v9, 10, v5
	v_mul_lo_u16 v5, v9, 6
	v_and_b32_e32 v9, 0xffff, v9
	s_delay_alu instid0(VALU_DEP_2) | instskip(NEXT) | instid1(VALU_DEP_1)
	v_sub_nc_u16 v5, v2, v5
	v_and_b32_e32 v5, 0xff, v5
	s_delay_alu instid0(VALU_DEP_1) | instskip(SKIP_1) | instid1(VALU_DEP_2)
	v_mul_u32_u24_e32 v23, 5, v5
	v_lshlrev_b32_e32 v5, 4, v5
	v_lshlrev_b32_e32 v47, 4, v23
	s_clause 0x6
	global_load_b128 v[23:26], v59, s[4:5] offset:64
	global_load_b128 v[27:30], v47, s[4:5] offset:32
	;; [unrolled: 1-line block ×3, first 2 shown]
	global_load_b128 v[35:38], v59, s[4:5]
	global_load_b128 v[39:42], v47, s[4:5]
	global_load_b128 v[43:46], v47, s[4:5] offset:16
	global_load_b128 v[47:50], v47, s[4:5] offset:48
	ds_load_b128 v[51:54], v14 offset:6912
	ds_load_b128 v[55:58], v14 offset:8640
	;; [unrolled: 1-line block ×7, first 2 shown]
	s_waitcnt vmcnt(9) lgkmcnt(6)
	v_mul_f64 v[79:80], v[53:54], v[12:13]
	v_mul_f64 v[12:13], v[51:52], v[12:13]
	s_waitcnt vmcnt(8) lgkmcnt(4)
	v_mul_f64 v[81:82], v[61:62], v[17:18]
	v_mul_f64 v[17:18], v[59:60], v[17:18]
	;; [unrolled: 3-line block ×4, first 2 shown]
	v_fma_f64 v[51:52], v[51:52], v[10:11], v[79:80]
	v_fma_f64 v[53:54], v[53:54], v[10:11], -v[12:13]
	ds_load_b128 v[10:13], v14 offset:19008
	s_waitcnt lgkmcnt(2)
	v_mul_f64 v[79:80], v[71:72], v[25:26]
	v_mul_f64 v[25:26], v[73:74], v[25:26]
	v_fma_f64 v[59:60], v[59:60], v[15:16], v[81:82]
	v_fma_f64 v[61:62], v[61:62], v[15:16], -v[17:18]
	ds_load_b128 v[15:18], v14 offset:3456
	v_fma_f64 v[63:64], v[63:64], v[19:20], v[83:84]
	v_fma_f64 v[65:66], v[65:66], v[19:20], -v[21:22]
	ds_load_b128 v[19:22], v14 offset:5184
	s_waitcnt vmcnt(4) lgkmcnt(2)
	v_mul_f64 v[81:82], v[10:11], v[33:34]
	s_waitcnt vmcnt(3) lgkmcnt(1)
	v_mul_f64 v[83:84], v[15:16], v[37:38]
	v_fma_f64 v[73:74], v[73:74], v[23:24], -v[79:80]
	s_waitcnt vmcnt(2) lgkmcnt(0)
	v_mul_f64 v[79:80], v[19:20], v[41:42]
	v_fma_f64 v[23:24], v[71:72], v[23:24], v[25:26]
	v_mul_f64 v[25:26], v[12:13], v[33:34]
	v_fma_f64 v[33:34], v[69:70], v[27:28], -v[85:86]
	v_fma_f64 v[27:28], v[67:68], v[27:28], v[29:30]
	s_waitcnt vmcnt(1)
	v_mul_f64 v[29:30], v[55:56], v[45:46]
	v_mul_f64 v[41:42], v[21:22], v[41:42]
	v_add_f64 v[85:86], v[53:54], -v[65:66]
	v_fma_f64 v[69:70], v[12:13], v[31:32], -v[81:82]
	v_mul_f64 v[12:13], v[17:18], v[37:38]
	v_mul_f64 v[37:38], v[57:58], v[45:46]
	s_waitcnt vmcnt(0)
	v_mul_f64 v[45:46], v[77:78], v[49:50]
	v_mul_f64 v[49:50], v[75:76], v[49:50]
	v_fma_f64 v[71:72], v[17:18], v[35:36], -v[83:84]
	v_add_f64 v[17:18], v[61:62], v[73:74]
	v_fma_f64 v[21:22], v[21:22], v[39:40], -v[79:80]
	v_fma_f64 v[25:26], v[10:11], v[31:32], v[25:26]
	v_fma_f64 v[29:30], v[57:58], v[43:44], -v[29:30]
	v_fma_f64 v[19:20], v[19:20], v[39:40], v[41:42]
	v_add_f64 v[10:11], v[33:34], v[69:70]
	v_fma_f64 v[31:32], v[15:16], v[35:36], v[12:13]
	v_add_f64 v[12:13], v[59:60], v[23:24]
	v_add_f64 v[15:16], v[59:60], -v[23:24]
	v_fma_f64 v[35:36], v[55:56], v[43:44], v[37:38]
	v_fma_f64 v[37:38], v[75:76], v[47:48], v[45:46]
	v_fma_f64 v[43:44], v[77:78], v[47:48], -v[49:50]
	v_add_f64 v[47:48], v[51:52], v[63:64]
	v_add_f64 v[49:50], v[53:54], v[65:66]
	v_add_f64 v[55:56], v[61:62], -v[73:74]
	v_add_f64 v[81:82], v[33:34], -v[69:70]
	v_fma_f64 v[17:18], v[17:18], -0.5, v[71:72]
	v_add_f64 v[39:40], v[27:28], v[25:26]
	v_add_f64 v[41:42], v[27:28], -v[25:26]
	v_fma_f64 v[45:46], v[10:11], -0.5, v[21:22]
	v_add_f64 v[21:22], v[21:22], v[33:34]
	v_fma_f64 v[57:58], v[12:13], -0.5, v[31:32]
	ds_load_b128 v[10:13], v14
	v_add_f64 v[31:32], v[31:32], v[59:60]
	v_add_f64 v[77:78], v[35:36], v[37:38]
	;; [unrolled: 1-line block ×4, first 2 shown]
	v_add_f64 v[71:72], v[29:30], -v[43:44]
	v_fma_f64 v[67:68], v[15:16], s[2:3], v[17:18]
	v_fma_f64 v[75:76], v[15:16], s[6:7], v[17:18]
	ds_load_b128 v[15:18], v14 offset:1728
	v_fma_f64 v[39:40], v[39:40], -0.5, v[19:20]
	s_waitcnt lgkmcnt(1)
	v_add_f64 v[53:54], v[12:13], v[53:54]
	v_add_f64 v[19:20], v[19:20], v[27:28]
	v_fma_f64 v[12:13], v[49:50], -0.5, v[12:13]
	s_waitcnt lgkmcnt(0)
	s_barrier
	buffer_gl0_inv
	v_fma_f64 v[83:84], v[41:42], s[2:3], v[45:46]
	v_fma_f64 v[41:42], v[41:42], s[6:7], v[45:46]
	v_add_f64 v[45:46], v[10:11], v[51:52]
	v_add_f64 v[51:52], v[51:52], -v[63:64]
	v_add_f64 v[61:62], v[15:16], v[35:36]
	v_add_f64 v[29:30], v[17:18], v[29:30]
	v_fma_f64 v[10:11], v[47:48], -0.5, v[10:11]
	v_fma_f64 v[27:28], v[55:56], s[6:7], v[57:58]
	v_fma_f64 v[33:34], v[55:56], s[2:3], v[57:58]
	v_add_f64 v[35:36], v[35:36], -v[37:38]
	v_fma_f64 v[15:16], v[77:78], -0.5, v[15:16]
	v_fma_f64 v[17:18], v[79:80], -0.5, v[17:18]
	v_add_f64 v[23:24], v[31:32], v[23:24]
	v_add_f64 v[31:32], v[59:60], v[73:74]
	v_mul_f64 v[47:48], v[67:68], s[6:7]
	v_mul_f64 v[55:56], v[67:68], 0.5
	v_mul_f64 v[49:50], v[75:76], s[6:7]
	v_mul_f64 v[57:58], v[75:76], -0.5
	v_fma_f64 v[67:68], v[81:82], s[6:7], v[39:40]
	v_fma_f64 v[39:40], v[81:82], s[2:3], v[39:40]
	v_add_f64 v[53:54], v[53:54], v[65:66]
	v_add_f64 v[25:26], v[19:20], v[25:26]
	v_mul_f64 v[75:76], v[83:84], s[6:7]
	v_mul_f64 v[79:80], v[83:84], 0.5
	v_mul_f64 v[77:78], v[41:42], s[6:7]
	v_mul_f64 v[41:42], v[41:42], -0.5
	v_add_f64 v[45:46], v[45:46], v[63:64]
	v_add_f64 v[37:38], v[61:62], v[37:38]
	;; [unrolled: 1-line block ×4, first 2 shown]
	v_fma_f64 v[59:60], v[85:86], s[6:7], v[10:11]
	v_fma_f64 v[63:64], v[51:52], s[2:3], v[12:13]
	;; [unrolled: 1-line block ×8, first 2 shown]
	v_lshrrev_b16 v85, 11, v3
	v_lshrrev_b16 v86, 11, v8
	v_mul_u32_u24_e32 v8, 0x240, v9
	v_fma_f64 v[47:48], v[27:28], 0.5, v[47:48]
	v_fma_f64 v[55:56], v[27:28], s[2:3], v[55:56]
	v_fma_f64 v[49:50], v[33:34], -0.5, v[49:50]
	v_fma_f64 v[57:58], v[33:34], s[2:3], v[57:58]
	v_mul_lo_u16 v3, v85, 36
	v_add3_u32 v5, 0, v8, v5
	v_add_f64 v[12:13], v[53:54], v[31:32]
	v_add_f64 v[17:18], v[53:54], -v[31:32]
	s_delay_alu instid0(VALU_DEP_4)
	v_sub_nc_u16 v3, v4, v3
	v_fma_f64 v[75:76], v[67:68], 0.5, v[75:76]
	v_fma_f64 v[67:68], v[67:68], s[2:3], v[79:80]
	v_fma_f64 v[77:78], v[39:40], -0.5, v[77:78]
	v_fma_f64 v[79:80], v[39:40], s[2:3], v[41:42]
	v_add_f64 v[10:11], v[45:46], v[23:24]
	v_add_f64 v[15:16], v[45:46], -v[23:24]
	v_add_f64 v[19:20], v[37:38], v[25:26]
	v_add_f64 v[21:22], v[29:30], v[43:44]
	v_add_f64 v[23:24], v[37:38], -v[25:26]
	v_add_f64 v[25:26], v[29:30], -v[43:44]
	v_add_f64 v[27:28], v[59:60], v[47:48]
	v_add_f64 v[29:30], v[63:64], v[55:56]
	;; [unrolled: 1-line block ×4, first 2 shown]
	v_add_f64 v[35:36], v[59:60], -v[47:48]
	v_add_f64 v[37:38], v[63:64], -v[55:56]
	;; [unrolled: 1-line block ×4, first 2 shown]
	v_and_b32_e32 v59, 0xffff, v0
	v_and_b32_e32 v0, 0xff, v3
	s_delay_alu instid0(VALU_DEP_2) | instskip(NEXT) | instid1(VALU_DEP_2)
	v_mul_u32_u24_e32 v3, 0x240, v59
	v_mul_u32_u24_e32 v9, 5, v0
	v_mul_lo_u16 v59, v86, 36
	v_lshlrev_b32_e32 v0, 4, v0
	s_delay_alu instid0(VALU_DEP_4)
	v_add3_u32 v1, 0, v3, v1
	v_add_f64 v[43:44], v[65:66], v[75:76]
	v_add_f64 v[45:46], v[71:72], v[67:68]
	;; [unrolled: 1-line block ×4, first 2 shown]
	v_add_f64 v[51:52], v[65:66], -v[75:76]
	v_add_f64 v[53:54], v[71:72], -v[67:68]
	;; [unrolled: 1-line block ×4, first 2 shown]
	v_lshlrev_b32_e32 v3, 4, v9
	ds_store_b128 v1, v[10:13]
	ds_store_b128 v1, v[27:30] offset:96
	ds_store_b128 v1, v[31:34] offset:192
	;; [unrolled: 1-line block ×5, first 2 shown]
	ds_store_b128 v5, v[19:22]
	ds_store_b128 v5, v[43:46] offset:96
	ds_store_b128 v5, v[47:50] offset:192
	;; [unrolled: 1-line block ×5, first 2 shown]
	s_waitcnt lgkmcnt(0)
	s_barrier
	buffer_gl0_inv
	global_load_b128 v[8:11], v3, s[4:5] offset:496
	v_sub_nc_u16 v1, v2, v59
	s_clause 0x1
	global_load_b128 v[15:18], v3, s[4:5] offset:512
	global_load_b128 v[19:22], v3, s[4:5] offset:544
	v_mul_u32_u24_e32 v5, 5, v4
	v_and_b32_e32 v1, 0xff, v1
	s_delay_alu instid0(VALU_DEP_2) | instskip(NEXT) | instid1(VALU_DEP_2)
	v_lshlrev_b32_e32 v5, 4, v5
	v_mul_u32_u24_e32 v2, 5, v1
	v_lshlrev_b32_e32 v1, 4, v1
	s_delay_alu instid0(VALU_DEP_2)
	v_lshlrev_b32_e32 v2, 4, v2
	s_clause 0x6
	global_load_b128 v[23:26], v2, s[4:5] offset:512
	global_load_b128 v[27:30], v2, s[4:5] offset:544
	global_load_b128 v[31:34], v3, s[4:5] offset:480
	global_load_b128 v[35:38], v2, s[4:5] offset:480
	global_load_b128 v[39:42], v3, s[4:5] offset:528
	global_load_b128 v[43:46], v2, s[4:5] offset:496
	global_load_b128 v[47:50], v2, s[4:5] offset:528
	ds_load_b128 v[51:54], v14 offset:6912
	ds_load_b128 v[55:58], v14 offset:10368
	;; [unrolled: 1-line block ×4, first 2 shown]
	s_waitcnt vmcnt(9) lgkmcnt(3)
	v_mul_f64 v[2:3], v[53:54], v[10:11]
	v_mul_f64 v[75:76], v[51:52], v[10:11]
	ds_load_b128 v[10:13], v14 offset:12096
	ds_load_b128 v[67:70], v14 offset:19008
	s_waitcnt vmcnt(8) lgkmcnt(4)
	v_mul_f64 v[77:78], v[55:56], v[17:18]
	s_waitcnt vmcnt(7) lgkmcnt(3)
	v_mul_f64 v[79:80], v[59:60], v[21:22]
	v_mul_f64 v[17:18], v[57:58], v[17:18]
	ds_load_b128 v[71:74], v14 offset:3456
	v_mul_f64 v[21:22], v[61:62], v[21:22]
	s_waitcnt vmcnt(6) lgkmcnt(2)
	v_mul_f64 v[81:82], v[10:11], v[25:26]
	s_waitcnt vmcnt(5) lgkmcnt(1)
	v_mul_f64 v[83:84], v[67:68], v[29:30]
	v_mul_f64 v[29:30], v[69:70], v[29:30]
	v_fma_f64 v[2:3], v[51:52], v[8:9], v[2:3]
	v_fma_f64 v[75:76], v[53:54], v[8:9], -v[75:76]
	ds_load_b128 v[51:54], v14 offset:5184
	v_mul_f64 v[8:9], v[12:13], v[25:26]
	s_waitcnt vmcnt(4) lgkmcnt(1)
	v_mul_f64 v[25:26], v[71:72], v[33:34]
	v_fma_f64 v[57:58], v[57:58], v[15:16], -v[77:78]
	v_fma_f64 v[61:62], v[61:62], v[19:20], -v[79:80]
	v_fma_f64 v[55:56], v[55:56], v[15:16], v[17:18]
	ds_load_b128 v[15:18], v14 offset:13824
	v_fma_f64 v[59:60], v[59:60], v[19:20], v[21:22]
	ds_load_b128 v[19:22], v14 offset:15552
	v_fma_f64 v[12:13], v[12:13], v[23:24], -v[81:82]
	s_waitcnt vmcnt(3) lgkmcnt(2)
	v_mul_f64 v[77:78], v[51:52], v[37:38]
	v_fma_f64 v[69:70], v[69:70], v[27:28], -v[83:84]
	v_fma_f64 v[27:28], v[67:68], v[27:28], v[29:30]
	v_mul_f64 v[37:38], v[53:54], v[37:38]
	s_waitcnt vmcnt(2) lgkmcnt(1)
	v_mul_f64 v[79:80], v[17:18], v[41:42]
	v_mul_f64 v[41:42], v[15:16], v[41:42]
	s_waitcnt vmcnt(0) lgkmcnt(0)
	v_mul_f64 v[29:30], v[21:22], v[49:50]
	v_mul_f64 v[49:50], v[19:20], v[49:50]
	v_fma_f64 v[23:24], v[10:11], v[23:24], v[8:9]
	v_mul_f64 v[8:9], v[73:74], v[33:34]
	v_fma_f64 v[25:26], v[73:74], v[31:32], -v[25:26]
	v_add_f64 v[33:34], v[57:58], v[61:62]
	v_mul_f64 v[10:11], v[65:66], v[45:46]
	v_mul_f64 v[45:46], v[63:64], v[45:46]
	v_fma_f64 v[53:54], v[53:54], v[35:36], -v[77:78]
	v_add_f64 v[67:68], v[12:13], v[69:70]
	v_add_f64 v[77:78], v[12:13], -v[69:70]
	v_fma_f64 v[73:74], v[15:16], v[39:40], v[79:80]
	v_fma_f64 v[39:40], v[17:18], v[39:40], -v[41:42]
	v_add_f64 v[15:16], v[55:56], -v[59:60]
	v_fma_f64 v[19:20], v[19:20], v[47:48], v[29:30]
	v_fma_f64 v[21:22], v[21:22], v[47:48], -v[49:50]
	v_fma_f64 v[29:30], v[51:52], v[35:36], v[37:38]
	v_add_f64 v[49:50], v[57:58], -v[61:62]
	v_add_f64 v[35:36], v[23:24], v[27:28]
	v_fma_f64 v[31:32], v[71:72], v[31:32], v[8:9]
	v_add_f64 v[8:9], v[55:56], v[59:60]
	v_fma_f64 v[17:18], v[33:34], -0.5, v[25:26]
	v_fma_f64 v[33:34], v[63:64], v[43:44], v[10:11]
	v_fma_f64 v[41:42], v[65:66], v[43:44], -v[45:46]
	v_add_f64 v[37:38], v[23:24], -v[27:28]
	v_add_f64 v[25:26], v[25:26], v[57:58]
	v_add_f64 v[12:13], v[53:54], v[12:13]
	v_fma_f64 v[43:44], v[67:68], -0.5, v[53:54]
	v_add_f64 v[45:46], v[2:3], v[73:74]
	v_add_f64 v[47:48], v[75:76], v[39:40]
	v_add_f64 v[81:82], v[75:76], -v[39:40]
	v_add_f64 v[23:24], v[29:30], v[23:24]
	v_fma_f64 v[35:36], v[35:36], -0.5, v[29:30]
	v_fma_f64 v[51:52], v[8:9], -0.5, v[31:32]
	v_fma_f64 v[63:64], v[15:16], s[2:3], v[17:18]
	v_fma_f64 v[65:66], v[15:16], s[6:7], v[17:18]
	v_add_f64 v[67:68], v[33:34], v[19:20]
	v_add_f64 v[71:72], v[41:42], v[21:22]
	ds_load_b128 v[8:11], v14
	ds_load_b128 v[15:18], v14 offset:1728
	v_add_f64 v[31:32], v[31:32], v[55:56]
	v_add_f64 v[57:58], v[41:42], -v[21:22]
	v_add_f64 v[25:26], v[25:26], v[61:62]
	s_waitcnt lgkmcnt(0)
	s_barrier
	buffer_gl0_inv
	v_add_f64 v[12:13], v[12:13], v[69:70]
	v_fma_f64 v[79:80], v[37:38], s[2:3], v[43:44]
	v_fma_f64 v[37:38], v[37:38], s[6:7], v[43:44]
	v_add_f64 v[43:44], v[8:9], v[2:3]
	v_add_f64 v[75:76], v[10:11], v[75:76]
	v_add_f64 v[2:3], v[2:3], -v[73:74]
	v_fma_f64 v[8:9], v[45:46], -0.5, v[8:9]
	v_fma_f64 v[10:11], v[47:48], -0.5, v[10:11]
	v_add_f64 v[41:42], v[17:18], v[41:42]
	v_add_f64 v[55:56], v[15:16], v[33:34]
	v_add_f64 v[33:34], v[33:34], -v[19:20]
	v_add_f64 v[23:24], v[23:24], v[27:28]
	v_fma_f64 v[29:30], v[49:50], s[6:7], v[51:52]
	v_fma_f64 v[45:46], v[49:50], s[2:3], v[51:52]
	v_mul_f64 v[47:48], v[63:64], s[6:7]
	v_mul_f64 v[51:52], v[63:64], 0.5
	v_mul_f64 v[49:50], v[65:66], s[6:7]
	v_mul_f64 v[53:54], v[65:66], -0.5
	v_fma_f64 v[15:16], v[67:68], -0.5, v[15:16]
	v_fma_f64 v[17:18], v[71:72], -0.5, v[17:18]
	v_fma_f64 v[63:64], v[77:78], s[6:7], v[35:36]
	v_fma_f64 v[35:36], v[77:78], s[2:3], v[35:36]
	v_add_f64 v[31:32], v[31:32], v[59:60]
	v_mul_f64 v[65:66], v[79:80], s[6:7]
	v_mul_f64 v[71:72], v[79:80], 0.5
	v_mul_f64 v[67:68], v[37:38], s[6:7]
	v_mul_f64 v[37:38], v[37:38], -0.5
	v_add_f64 v[43:44], v[43:44], v[73:74]
	v_add_f64 v[39:40], v[75:76], v[39:40]
	v_fma_f64 v[59:60], v[81:82], s[6:7], v[8:9]
	v_fma_f64 v[69:70], v[2:3], s[2:3], v[10:11]
	;; [unrolled: 1-line block ×4, first 2 shown]
	v_add_f64 v[41:42], v[41:42], v[21:22]
	v_add_f64 v[55:56], v[55:56], v[19:20]
	v_fma_f64 v[47:48], v[29:30], 0.5, v[47:48]
	v_fma_f64 v[51:52], v[29:30], s[2:3], v[51:52]
	v_fma_f64 v[49:50], v[45:46], -0.5, v[49:50]
	v_fma_f64 v[45:46], v[45:46], s[2:3], v[53:54]
	v_fma_f64 v[53:54], v[57:58], s[6:7], v[15:16]
	;; [unrolled: 1-line block ×5, first 2 shown]
	v_fma_f64 v[65:66], v[63:64], 0.5, v[65:66]
	v_fma_f64 v[63:64], v[63:64], s[2:3], v[71:72]
	v_fma_f64 v[67:68], v[35:36], -0.5, v[67:68]
	v_fma_f64 v[71:72], v[35:36], s[2:3], v[37:38]
	v_add_f64 v[8:9], v[43:44], v[31:32]
	v_add_f64 v[10:11], v[39:40], v[25:26]
	v_add_f64 v[15:16], v[43:44], -v[31:32]
	v_add_f64 v[17:18], v[39:40], -v[25:26]
	v_add_f64 v[21:22], v[41:42], v[12:13]
	v_add_f64 v[25:26], v[41:42], -v[12:13]
	v_add_f64 v[19:20], v[55:56], v[23:24]
	v_add_f64 v[23:24], v[55:56], -v[23:24]
	v_add_co_u32 v12, s0, s4, v5
	s_delay_alu instid0(VALU_DEP_1)
	v_add_co_ci_u32_e64 v13, null, s5, 0, s0
	v_add_f64 v[27:28], v[59:60], v[47:48]
	v_add_f64 v[29:30], v[69:70], v[51:52]
	v_add_f64 v[31:32], v[61:62], v[49:50]
	v_add_f64 v[33:34], v[2:3], v[45:46]
	v_add_f64 v[35:36], v[59:60], -v[47:48]
	v_add_f64 v[37:38], v[69:70], -v[51:52]
	v_add_f64 v[39:40], v[61:62], -v[49:50]
	v_add_f64 v[41:42], v[2:3], -v[45:46]
	v_and_b32_e32 v2, 0xffff, v85
	v_and_b32_e32 v3, 0xffff, v86
	v_add_co_u32 v12, s0, 0x21c0, v12
	s_delay_alu instid0(VALU_DEP_1) | instskip(NEXT) | instid1(VALU_DEP_4)
	v_add_co_ci_u32_e64 v13, s0, 0, v13, s0
	v_mul_u32_u24_e32 v2, 0xd80, v2
	s_delay_alu instid0(VALU_DEP_4)
	v_mul_u32_u24_e32 v3, 0xd80, v3
	v_add_f64 v[43:44], v[53:54], v[65:66]
	v_add_f64 v[45:46], v[73:74], v[63:64]
	;; [unrolled: 1-line block ×4, first 2 shown]
	v_add_f64 v[51:52], v[53:54], -v[65:66]
	v_add_f64 v[53:54], v[73:74], -v[63:64]
	;; [unrolled: 1-line block ×4, first 2 shown]
	v_add3_u32 v0, 0, v2, v0
	v_add3_u32 v1, 0, v3, v1
	ds_store_b128 v0, v[8:11]
	ds_store_b128 v0, v[27:30] offset:576
	ds_store_b128 v0, v[31:34] offset:1152
	;; [unrolled: 1-line block ×5, first 2 shown]
	ds_store_b128 v1, v[19:22]
	ds_store_b128 v1, v[43:46] offset:576
	ds_store_b128 v1, v[47:50] offset:1152
	;; [unrolled: 1-line block ×5, first 2 shown]
	s_waitcnt lgkmcnt(0)
	s_barrier
	buffer_gl0_inv
	s_clause 0x9
	global_load_b128 v[0:3], v5, s[4:5] offset:3376
	global_load_b128 v[8:11], v5, s[4:5] offset:3392
	;; [unrolled: 1-line block ×3, first 2 shown]
	global_load_b128 v[19:22], v[12:13], off offset:3392
	global_load_b128 v[23:26], v[12:13], off offset:3424
	global_load_b128 v[27:30], v5, s[4:5] offset:3360
	global_load_b128 v[31:34], v[12:13], off offset:3360
	global_load_b128 v[35:38], v5, s[4:5] offset:3408
	global_load_b128 v[39:42], v[12:13], off offset:3376
	global_load_b128 v[43:46], v[12:13], off offset:3408
	ds_load_b128 v[47:50], v14 offset:6912
	ds_load_b128 v[51:54], v14 offset:10368
	;; [unrolled: 1-line block ×6, first 2 shown]
	s_waitcnt vmcnt(6) lgkmcnt(2)
	v_mul_f64 v[81:82], v[59:60], v[21:22]
	s_waitcnt vmcnt(5) lgkmcnt(1)
	v_mul_f64 v[83:84], v[63:64], v[25:26]
	v_mul_f64 v[21:22], v[61:62], v[21:22]
	v_mul_f64 v[25:26], v[65:66], v[25:26]
	v_mul_f64 v[77:78], v[51:52], v[10:11]
	v_mul_f64 v[79:80], v[55:56], v[17:18]
	v_mul_f64 v[75:76], v[49:50], v[2:3]
	v_mul_f64 v[2:3], v[47:48], v[2:3]
	v_mul_f64 v[85:86], v[53:54], v[10:11]
	ds_load_b128 v[10:13], v14 offset:3456
	ds_load_b128 v[71:74], v14 offset:5184
	v_mul_f64 v[17:18], v[57:58], v[17:18]
	s_waitcnt vmcnt(4) lgkmcnt(1)
	v_mul_f64 v[89:90], v[10:11], v[29:30]
	v_fma_f64 v[61:62], v[61:62], v[19:20], -v[81:82]
	v_fma_f64 v[65:66], v[65:66], v[23:24], -v[83:84]
	v_fma_f64 v[19:20], v[59:60], v[19:20], v[21:22]
	v_fma_f64 v[23:24], v[63:64], v[23:24], v[25:26]
	v_fma_f64 v[53:54], v[53:54], v[8:9], -v[77:78]
	v_fma_f64 v[57:58], v[57:58], v[15:16], -v[79:80]
	s_waitcnt vmcnt(3) lgkmcnt(0)
	v_mul_f64 v[77:78], v[71:72], v[33:34]
	v_fma_f64 v[75:76], v[47:48], v[0:1], v[75:76]
	v_fma_f64 v[87:88], v[49:50], v[0:1], -v[2:3]
	ds_load_b128 v[0:3], v14 offset:13824
	ds_load_b128 v[47:50], v14 offset:15552
	v_fma_f64 v[51:52], v[51:52], v[8:9], v[85:86]
	v_fma_f64 v[15:16], v[55:56], v[15:16], v[17:18]
	v_mul_f64 v[8:9], v[12:13], v[29:30]
	v_mul_f64 v[25:26], v[73:74], v[33:34]
	s_waitcnt vmcnt(2) lgkmcnt(1)
	v_mul_f64 v[17:18], v[2:3], v[37:38]
	v_mul_f64 v[29:30], v[0:1], v[37:38]
	v_fma_f64 v[12:13], v[12:13], v[27:28], -v[89:90]
	s_waitcnt vmcnt(1)
	v_mul_f64 v[37:38], v[69:70], v[41:42]
	v_mul_f64 v[41:42], v[67:68], v[41:42]
	s_waitcnt vmcnt(0) lgkmcnt(0)
	v_mul_f64 v[55:56], v[49:50], v[45:46]
	v_mul_f64 v[45:46], v[47:48], v[45:46]
	v_add_f64 v[59:60], v[61:62], v[65:66]
	v_add_f64 v[21:22], v[53:54], v[57:58]
	v_fma_f64 v[33:34], v[73:74], v[31:32], -v[77:78]
	v_fma_f64 v[27:28], v[10:11], v[27:28], v[8:9]
	v_fma_f64 v[25:26], v[71:72], v[31:32], v[25:26]
	v_add_f64 v[10:11], v[19:20], v[23:24]
	v_add_f64 v[31:32], v[19:20], -v[23:24]
	v_fma_f64 v[17:18], v[0:1], v[35:36], v[17:18]
	v_fma_f64 v[29:30], v[2:3], v[35:36], -v[29:30]
	v_add_f64 v[0:1], v[51:52], v[15:16]
	v_add_f64 v[2:3], v[51:52], -v[15:16]
	v_fma_f64 v[35:36], v[69:70], v[39:40], -v[41:42]
	v_add_f64 v[69:70], v[61:62], -v[65:66]
	v_fma_f64 v[8:9], v[21:22], -0.5, v[12:13]
	v_fma_f64 v[21:22], v[67:68], v[39:40], v[37:38]
	v_fma_f64 v[37:38], v[47:48], v[43:44], v[55:56]
	v_fma_f64 v[39:40], v[49:50], v[43:44], -v[45:46]
	v_fma_f64 v[41:42], v[59:60], -0.5, v[33:34]
	v_add_f64 v[47:48], v[53:54], -v[57:58]
	v_add_f64 v[12:13], v[12:13], v[53:54]
	v_add_f64 v[19:20], v[25:26], v[19:20]
	v_fma_f64 v[71:72], v[10:11], -0.5, v[25:26]
	v_add_f64 v[25:26], v[33:34], v[61:62]
	v_add_f64 v[43:44], v[75:76], v[17:18]
	;; [unrolled: 1-line block ×3, first 2 shown]
	v_fma_f64 v[49:50], v[0:1], -0.5, v[27:28]
	v_add_f64 v[27:28], v[27:28], v[51:52]
	v_add_f64 v[77:78], v[87:88], -v[29:30]
	v_fma_f64 v[55:56], v[2:3], s[2:3], v[8:9]
	v_fma_f64 v[59:60], v[2:3], s[6:7], v[8:9]
	v_add_f64 v[63:64], v[21:22], v[37:38]
	v_add_f64 v[67:68], v[35:36], v[39:40]
	v_fma_f64 v[73:74], v[31:32], s[2:3], v[41:42]
	v_fma_f64 v[31:32], v[31:32], s[6:7], v[41:42]
	ds_load_b128 v[0:3], v14
	ds_load_b128 v[8:11], v14 offset:1728
	v_add_f64 v[53:54], v[35:36], -v[39:40]
	v_fma_f64 v[61:62], v[69:70], s[2:3], v[71:72]
	v_add_f64 v[12:13], v[12:13], v[57:58]
	v_add_f64 v[19:20], v[19:20], v[23:24]
	;; [unrolled: 1-line block ×3, first 2 shown]
	s_waitcnt lgkmcnt(0)
	s_barrier
	buffer_gl0_inv
	v_fma_f64 v[33:34], v[47:48], s[6:7], v[49:50]
	v_add_f64 v[41:42], v[0:1], v[75:76]
	v_add_f64 v[79:80], v[2:3], v[87:88]
	v_add_f64 v[51:52], v[8:9], v[21:22]
	v_add_f64 v[35:36], v[10:11], v[35:36]
	v_add_f64 v[75:76], v[75:76], -v[17:18]
	v_fma_f64 v[0:1], v[43:44], -0.5, v[0:1]
	v_fma_f64 v[2:3], v[45:46], -0.5, v[2:3]
	v_fma_f64 v[43:44], v[47:48], s[2:3], v[49:50]
	v_add_f64 v[21:22], v[21:22], -v[37:38]
	v_add_f64 v[15:16], v[27:28], v[15:16]
	v_mul_f64 v[45:46], v[55:56], s[6:7]
	v_mul_f64 v[49:50], v[55:56], 0.5
	v_mul_f64 v[47:48], v[59:60], s[6:7]
	v_mul_f64 v[55:56], v[59:60], -0.5
	v_fma_f64 v[8:9], v[63:64], -0.5, v[8:9]
	v_fma_f64 v[10:11], v[67:68], -0.5, v[10:11]
	v_fma_f64 v[59:60], v[69:70], s[6:7], v[71:72]
	v_mul_f64 v[63:64], v[73:74], s[6:7]
	v_mul_f64 v[67:68], v[73:74], 0.5
	v_mul_f64 v[69:70], v[31:32], s[6:7]
	v_mul_f64 v[31:32], v[31:32], -0.5
	v_add_f64 v[17:18], v[41:42], v[17:18]
	v_add_f64 v[29:30], v[79:80], v[29:30]
	;; [unrolled: 1-line block ×4, first 2 shown]
	v_fma_f64 v[37:38], v[77:78], s[6:7], v[0:1]
	v_fma_f64 v[41:42], v[75:76], s[2:3], v[2:3]
	;; [unrolled: 1-line block ×4, first 2 shown]
	v_fma_f64 v[45:46], v[33:34], 0.5, v[45:46]
	v_fma_f64 v[33:34], v[33:34], s[2:3], v[49:50]
	v_fma_f64 v[47:48], v[43:44], -0.5, v[47:48]
	v_fma_f64 v[43:44], v[43:44], s[2:3], v[55:56]
	v_fma_f64 v[49:50], v[53:54], s[6:7], v[8:9]
	v_fma_f64 v[55:56], v[21:22], s[2:3], v[10:11]
	v_fma_f64 v[53:54], v[53:54], s[2:3], v[8:9]
	v_fma_f64 v[63:64], v[59:60], 0.5, v[63:64]
	v_fma_f64 v[59:60], v[59:60], s[2:3], v[67:68]
	v_fma_f64 v[57:58], v[21:22], s[6:7], v[10:11]
	v_fma_f64 v[65:66], v[61:62], -0.5, v[69:70]
	v_fma_f64 v[61:62], v[61:62], s[2:3], v[31:32]
	v_add_f64 v[0:1], v[17:18], v[15:16]
	v_add_f64 v[2:3], v[29:30], v[12:13]
	v_add_f64 v[8:9], v[17:18], -v[15:16]
	v_add_f64 v[15:16], v[27:28], v[19:20]
	v_add_f64 v[17:18], v[35:36], v[23:24]
	v_add_f64 v[10:11], v[29:30], -v[12:13]
	v_add_f64 v[19:20], v[27:28], -v[19:20]
	;; [unrolled: 1-line block ×3, first 2 shown]
	v_add_f64 v[23:24], v[37:38], v[45:46]
	v_add_f64 v[25:26], v[41:42], v[33:34]
	;; [unrolled: 1-line block ×3, first 2 shown]
	v_add_f64 v[35:36], v[39:40], -v[47:48]
	v_add_f64 v[33:34], v[41:42], -v[33:34]
	v_add_f64 v[29:30], v[51:52], v[43:44]
	v_add_f64 v[31:32], v[37:38], -v[45:46]
	v_add_f64 v[39:40], v[49:50], v[63:64]
	v_add_f64 v[41:42], v[55:56], v[59:60]
	v_add_f64 v[37:38], v[51:52], -v[43:44]
	v_add_f64 v[43:44], v[53:54], v[65:66]
	v_add_f64 v[45:46], v[57:58], v[61:62]
	v_add_f64 v[47:48], v[49:50], -v[63:64]
	v_add_f64 v[49:50], v[55:56], -v[59:60]
	;; [unrolled: 1-line block ×4, first 2 shown]
	ds_store_b128 v14, v[0:3]
	ds_store_b128 v14, v[15:18] offset:1728
	ds_store_b128 v14, v[8:11] offset:10368
	;; [unrolled: 1-line block ×11, first 2 shown]
	s_waitcnt lgkmcnt(0)
	s_barrier
	buffer_gl0_inv
	s_and_saveexec_b32 s0, vcc_lo
	s_cbranch_execz .LBB0_19
; %bb.18:
	v_lshl_add_u32 v36, v4, 4, 0
	v_dual_mov_b32 v5, 0 :: v_dual_add_nc_u32 v12, 0x6c, v4
	v_add_co_u32 v37, vcc_lo, s8, v6
	ds_load_b128 v[0:3], v36
	ds_load_b128 v[8:11], v36 offset:1728
	v_dual_mov_b32 v13, v5 :: v_dual_add_nc_u32 v6, 0xd8, v4
	v_lshlrev_b64 v[14:15], 4, v[4:5]
	v_add_co_ci_u32_e32 v38, vcc_lo, s9, v7, vcc_lo
	v_dual_mov_b32 v7, v5 :: v_dual_add_nc_u32 v16, 0x144, v4
	s_delay_alu instid0(VALU_DEP_4) | instskip(NEXT) | instid1(VALU_DEP_4)
	v_lshlrev_b64 v[12:13], 4, v[12:13]
	v_add_co_u32 v14, vcc_lo, v37, v14
	s_delay_alu instid0(VALU_DEP_4) | instskip(NEXT) | instid1(VALU_DEP_4)
	v_add_co_ci_u32_e32 v15, vcc_lo, v38, v15, vcc_lo
	v_lshlrev_b64 v[6:7], 4, v[6:7]
	s_delay_alu instid0(VALU_DEP_4) | instskip(SKIP_2) | instid1(VALU_DEP_4)
	v_add_co_u32 v12, vcc_lo, v37, v12
	v_add_co_ci_u32_e32 v13, vcc_lo, v38, v13, vcc_lo
	v_mov_b32_e32 v17, v5
	v_add_co_u32 v18, vcc_lo, v37, v6
	s_waitcnt lgkmcnt(1)
	global_store_b128 v[14:15], v[0:3], off
	s_waitcnt lgkmcnt(0)
	global_store_b128 v[12:13], v[8:11], off
	v_dual_mov_b32 v11, v5 :: v_dual_add_nc_u32 v10, 0x1b0, v4
	v_add_nc_u32_e32 v24, 0x21c, v4
	v_add_co_ci_u32_e32 v19, vcc_lo, v38, v7, vcc_lo
	ds_load_b128 v[0:3], v36 offset:3456
	ds_load_b128 v[6:9], v36 offset:5184
	v_lshlrev_b64 v[20:21], 4, v[16:17]
	v_lshlrev_b64 v[22:23], 4, v[10:11]
	ds_load_b128 v[10:13], v36 offset:6912
	ds_load_b128 v[14:17], v36 offset:8640
	v_dual_mov_b32 v25, v5 :: v_dual_add_nc_u32 v26, 0x288, v4
	v_mov_b32_e32 v27, v5
	v_add_co_u32 v20, vcc_lo, v37, v20
	s_delay_alu instid0(VALU_DEP_3) | instskip(SKIP_3) | instid1(VALU_DEP_4)
	v_lshlrev_b64 v[24:25], 4, v[24:25]
	v_add_co_ci_u32_e32 v21, vcc_lo, v38, v21, vcc_lo
	v_add_co_u32 v22, vcc_lo, v37, v22
	v_add_co_ci_u32_e32 v23, vcc_lo, v38, v23, vcc_lo
	v_add_co_u32 v24, vcc_lo, v37, v24
	s_waitcnt lgkmcnt(3)
	global_store_b128 v[18:19], v[0:3], off
	s_waitcnt lgkmcnt(2)
	global_store_b128 v[20:21], v[6:9], off
	v_dual_mov_b32 v3, v5 :: v_dual_add_nc_u32 v2, 0x2f4, v4
	v_add_co_ci_u32_e32 v25, vcc_lo, v38, v25, vcc_lo
	v_lshlrev_b64 v[0:1], 4, v[26:27]
	s_waitcnt lgkmcnt(1)
	global_store_b128 v[22:23], v[10:13], off
	s_waitcnt lgkmcnt(0)
	global_store_b128 v[24:25], v[14:17], off
	v_add_nc_u32_e32 v12, 0x360, v4
	v_lshlrev_b64 v[10:11], 4, v[2:3]
	v_dual_mov_b32 v13, v5 :: v_dual_add_nc_u32 v18, 0x3cc, v4
	v_add_co_u32 v26, vcc_lo, v37, v0
	v_add_co_ci_u32_e32 v27, vcc_lo, v38, v1, vcc_lo
	s_delay_alu instid0(VALU_DEP_4)
	v_add_co_u32 v28, vcc_lo, v37, v10
	v_add_co_ci_u32_e32 v29, vcc_lo, v38, v11, vcc_lo
	v_lshlrev_b64 v[10:11], 4, v[12:13]
	v_dual_mov_b32 v19, v5 :: v_dual_add_nc_u32 v20, 0x438, v4
	v_dual_mov_b32 v21, v5 :: v_dual_add_nc_u32 v4, 0x4a4, v4
	ds_load_b128 v[0:3], v36 offset:10368
	ds_load_b128 v[6:9], v36 offset:12096
	v_add_co_u32 v30, vcc_lo, v37, v10
	v_add_co_ci_u32_e32 v31, vcc_lo, v38, v11, vcc_lo
	ds_load_b128 v[10:13], v36 offset:13824
	ds_load_b128 v[14:17], v36 offset:15552
	v_lshlrev_b64 v[32:33], 4, v[18:19]
	v_lshlrev_b64 v[34:35], 4, v[20:21]
	ds_load_b128 v[18:21], v36 offset:17280
	ds_load_b128 v[22:25], v36 offset:19008
	v_lshlrev_b64 v[4:5], 4, v[4:5]
	v_add_co_u32 v32, vcc_lo, v37, v32
	v_add_co_ci_u32_e32 v33, vcc_lo, v38, v33, vcc_lo
	v_add_co_u32 v34, vcc_lo, v37, v34
	v_add_co_ci_u32_e32 v35, vcc_lo, v38, v35, vcc_lo
	;; [unrolled: 2-line block ×3, first 2 shown]
	s_waitcnt lgkmcnt(5)
	global_store_b128 v[26:27], v[0:3], off
	s_waitcnt lgkmcnt(4)
	global_store_b128 v[28:29], v[6:9], off
	;; [unrolled: 2-line block ×6, first 2 shown]
.LBB0_19:
	s_nop 0
	s_sendmsg sendmsg(MSG_DEALLOC_VGPRS)
	s_endpgm
	.section	.rodata,"a",@progbits
	.p2align	6, 0x0
	.amdhsa_kernel fft_rtc_back_len1296_factors_6_6_6_6_wgs_108_tpt_108_halfLds_dp_ip_CI_unitstride_sbrr_C2R_dirReg
		.amdhsa_group_segment_fixed_size 0
		.amdhsa_private_segment_fixed_size 0
		.amdhsa_kernarg_size 88
		.amdhsa_user_sgpr_count 15
		.amdhsa_user_sgpr_dispatch_ptr 0
		.amdhsa_user_sgpr_queue_ptr 0
		.amdhsa_user_sgpr_kernarg_segment_ptr 1
		.amdhsa_user_sgpr_dispatch_id 0
		.amdhsa_user_sgpr_private_segment_size 0
		.amdhsa_wavefront_size32 1
		.amdhsa_uses_dynamic_stack 0
		.amdhsa_enable_private_segment 0
		.amdhsa_system_sgpr_workgroup_id_x 1
		.amdhsa_system_sgpr_workgroup_id_y 0
		.amdhsa_system_sgpr_workgroup_id_z 0
		.amdhsa_system_sgpr_workgroup_info 0
		.amdhsa_system_vgpr_workitem_id 0
		.amdhsa_next_free_vgpr 91
		.amdhsa_next_free_sgpr 21
		.amdhsa_reserve_vcc 1
		.amdhsa_float_round_mode_32 0
		.amdhsa_float_round_mode_16_64 0
		.amdhsa_float_denorm_mode_32 3
		.amdhsa_float_denorm_mode_16_64 3
		.amdhsa_dx10_clamp 1
		.amdhsa_ieee_mode 1
		.amdhsa_fp16_overflow 0
		.amdhsa_workgroup_processor_mode 1
		.amdhsa_memory_ordered 1
		.amdhsa_forward_progress 0
		.amdhsa_shared_vgpr_count 0
		.amdhsa_exception_fp_ieee_invalid_op 0
		.amdhsa_exception_fp_denorm_src 0
		.amdhsa_exception_fp_ieee_div_zero 0
		.amdhsa_exception_fp_ieee_overflow 0
		.amdhsa_exception_fp_ieee_underflow 0
		.amdhsa_exception_fp_ieee_inexact 0
		.amdhsa_exception_int_div_zero 0
	.end_amdhsa_kernel
	.text
.Lfunc_end0:
	.size	fft_rtc_back_len1296_factors_6_6_6_6_wgs_108_tpt_108_halfLds_dp_ip_CI_unitstride_sbrr_C2R_dirReg, .Lfunc_end0-fft_rtc_back_len1296_factors_6_6_6_6_wgs_108_tpt_108_halfLds_dp_ip_CI_unitstride_sbrr_C2R_dirReg
                                        ; -- End function
	.section	.AMDGPU.csdata,"",@progbits
; Kernel info:
; codeLenInByte = 9536
; NumSgprs: 23
; NumVgprs: 91
; ScratchSize: 0
; MemoryBound: 0
; FloatMode: 240
; IeeeMode: 1
; LDSByteSize: 0 bytes/workgroup (compile time only)
; SGPRBlocks: 2
; VGPRBlocks: 11
; NumSGPRsForWavesPerEU: 23
; NumVGPRsForWavesPerEU: 91
; Occupancy: 16
; WaveLimiterHint : 1
; COMPUTE_PGM_RSRC2:SCRATCH_EN: 0
; COMPUTE_PGM_RSRC2:USER_SGPR: 15
; COMPUTE_PGM_RSRC2:TRAP_HANDLER: 0
; COMPUTE_PGM_RSRC2:TGID_X_EN: 1
; COMPUTE_PGM_RSRC2:TGID_Y_EN: 0
; COMPUTE_PGM_RSRC2:TGID_Z_EN: 0
; COMPUTE_PGM_RSRC2:TIDIG_COMP_CNT: 0
	.text
	.p2alignl 7, 3214868480
	.fill 96, 4, 3214868480
	.type	__hip_cuid_9a6b2f0e8f21bef5,@object ; @__hip_cuid_9a6b2f0e8f21bef5
	.section	.bss,"aw",@nobits
	.globl	__hip_cuid_9a6b2f0e8f21bef5
__hip_cuid_9a6b2f0e8f21bef5:
	.byte	0                               ; 0x0
	.size	__hip_cuid_9a6b2f0e8f21bef5, 1

	.ident	"AMD clang version 19.0.0git (https://github.com/RadeonOpenCompute/llvm-project roc-6.4.0 25133 c7fe45cf4b819c5991fe208aaa96edf142730f1d)"
	.section	".note.GNU-stack","",@progbits
	.addrsig
	.addrsig_sym __hip_cuid_9a6b2f0e8f21bef5
	.amdgpu_metadata
---
amdhsa.kernels:
  - .args:
      - .actual_access:  read_only
        .address_space:  global
        .offset:         0
        .size:           8
        .value_kind:     global_buffer
      - .offset:         8
        .size:           8
        .value_kind:     by_value
      - .actual_access:  read_only
        .address_space:  global
        .offset:         16
        .size:           8
        .value_kind:     global_buffer
      - .actual_access:  read_only
        .address_space:  global
        .offset:         24
        .size:           8
        .value_kind:     global_buffer
      - .offset:         32
        .size:           8
        .value_kind:     by_value
      - .actual_access:  read_only
        .address_space:  global
        .offset:         40
        .size:           8
        .value_kind:     global_buffer
      - .actual_access:  read_only
        .address_space:  global
        .offset:         48
        .size:           8
        .value_kind:     global_buffer
      - .offset:         56
        .size:           4
        .value_kind:     by_value
      - .actual_access:  read_only
        .address_space:  global
        .offset:         64
        .size:           8
        .value_kind:     global_buffer
      - .actual_access:  read_only
        .address_space:  global
        .offset:         72
        .size:           8
        .value_kind:     global_buffer
      - .address_space:  global
        .offset:         80
        .size:           8
        .value_kind:     global_buffer
    .group_segment_fixed_size: 0
    .kernarg_segment_align: 8
    .kernarg_segment_size: 88
    .language:       OpenCL C
    .language_version:
      - 2
      - 0
    .max_flat_workgroup_size: 108
    .name:           fft_rtc_back_len1296_factors_6_6_6_6_wgs_108_tpt_108_halfLds_dp_ip_CI_unitstride_sbrr_C2R_dirReg
    .private_segment_fixed_size: 0
    .sgpr_count:     23
    .sgpr_spill_count: 0
    .symbol:         fft_rtc_back_len1296_factors_6_6_6_6_wgs_108_tpt_108_halfLds_dp_ip_CI_unitstride_sbrr_C2R_dirReg.kd
    .uniform_work_group_size: 1
    .uses_dynamic_stack: false
    .vgpr_count:     91
    .vgpr_spill_count: 0
    .wavefront_size: 32
    .workgroup_processor_mode: 1
amdhsa.target:   amdgcn-amd-amdhsa--gfx1100
amdhsa.version:
  - 1
  - 2
...

	.end_amdgpu_metadata
